;; amdgpu-corpus repo=ROCm/rocFFT kind=compiled arch=gfx1201 opt=O3
	.text
	.amdgcn_target "amdgcn-amd-amdhsa--gfx1201"
	.amdhsa_code_object_version 6
	.protected	fft_rtc_back_len270_factors_10_3_3_3_wgs_108_tpt_27_halfLds_dp_op_CI_CI_sbrr_dirReg ; -- Begin function fft_rtc_back_len270_factors_10_3_3_3_wgs_108_tpt_27_halfLds_dp_op_CI_CI_sbrr_dirReg
	.globl	fft_rtc_back_len270_factors_10_3_3_3_wgs_108_tpt_27_halfLds_dp_op_CI_CI_sbrr_dirReg
	.p2align	8
	.type	fft_rtc_back_len270_factors_10_3_3_3_wgs_108_tpt_27_halfLds_dp_op_CI_CI_sbrr_dirReg,@function
fft_rtc_back_len270_factors_10_3_3_3_wgs_108_tpt_27_halfLds_dp_op_CI_CI_sbrr_dirReg: ; @fft_rtc_back_len270_factors_10_3_3_3_wgs_108_tpt_27_halfLds_dp_op_CI_CI_sbrr_dirReg
; %bb.0:
	s_clause 0x2
	s_load_b128 s[12:15], s[0:1], 0x18
	s_load_b128 s[4:7], s[0:1], 0x0
	;; [unrolled: 1-line block ×3, first 2 shown]
	v_mul_u32_u24_e32 v1, 0x97c, v0
	v_mov_b32_e32 v4, 0
	v_mov_b32_e32 v5, 0
	s_wait_kmcnt 0x0
	s_load_b64 s[18:19], s[12:13], 0x0
	s_load_b64 s[16:17], s[14:15], 0x0
	v_lshrrev_b32_e32 v44, 16, v1
	v_mov_b32_e32 v1, 0
	v_cmp_lt_u64_e64 s2, s[6:7], 2
	s_delay_alu instid0(VALU_DEP_3) | instskip(NEXT) | instid1(VALU_DEP_3)
	v_lshl_add_u32 v6, ttmp9, 2, v44
	v_mov_b32_e32 v7, v1
	s_delay_alu instid0(VALU_DEP_3)
	s_and_b32 vcc_lo, exec_lo, s2
	s_cbranch_vccnz .LBB0_8
; %bb.1:
	s_load_b64 s[2:3], s[0:1], 0x10
	v_mov_b32_e32 v4, 0
	v_mov_b32_e32 v5, 0
	s_add_nc_u64 s[20:21], s[14:15], 8
	s_add_nc_u64 s[22:23], s[12:13], 8
	s_mov_b64 s[24:25], 1
	s_delay_alu instid0(VALU_DEP_1)
	v_dual_mov_b32 v61, v5 :: v_dual_mov_b32 v60, v4
	s_wait_kmcnt 0x0
	s_add_nc_u64 s[26:27], s[2:3], 8
	s_mov_b32 s3, 0
.LBB0_2:                                ; =>This Inner Loop Header: Depth=1
	s_load_b64 s[28:29], s[26:27], 0x0
                                        ; implicit-def: $vgpr62_vgpr63
	s_mov_b32 s2, exec_lo
	s_wait_kmcnt 0x0
	v_or_b32_e32 v2, s29, v7
	s_delay_alu instid0(VALU_DEP_1)
	v_cmpx_ne_u64_e32 0, v[1:2]
	s_wait_alu 0xfffe
	s_xor_b32 s30, exec_lo, s2
	s_cbranch_execz .LBB0_4
; %bb.3:                                ;   in Loop: Header=BB0_2 Depth=1
	s_cvt_f32_u32 s2, s28
	s_cvt_f32_u32 s31, s29
	s_sub_nc_u64 s[36:37], 0, s[28:29]
	s_wait_alu 0xfffe
	s_delay_alu instid0(SALU_CYCLE_1) | instskip(SKIP_1) | instid1(SALU_CYCLE_2)
	s_fmamk_f32 s2, s31, 0x4f800000, s2
	s_wait_alu 0xfffe
	v_s_rcp_f32 s2, s2
	s_delay_alu instid0(TRANS32_DEP_1) | instskip(SKIP_1) | instid1(SALU_CYCLE_2)
	s_mul_f32 s2, s2, 0x5f7ffffc
	s_wait_alu 0xfffe
	s_mul_f32 s31, s2, 0x2f800000
	s_wait_alu 0xfffe
	s_delay_alu instid0(SALU_CYCLE_2) | instskip(SKIP_1) | instid1(SALU_CYCLE_2)
	s_trunc_f32 s31, s31
	s_wait_alu 0xfffe
	s_fmamk_f32 s2, s31, 0xcf800000, s2
	s_cvt_u32_f32 s35, s31
	s_wait_alu 0xfffe
	s_delay_alu instid0(SALU_CYCLE_1) | instskip(SKIP_1) | instid1(SALU_CYCLE_2)
	s_cvt_u32_f32 s34, s2
	s_wait_alu 0xfffe
	s_mul_u64 s[38:39], s[36:37], s[34:35]
	s_wait_alu 0xfffe
	s_mul_hi_u32 s41, s34, s39
	s_mul_i32 s40, s34, s39
	s_mul_hi_u32 s2, s34, s38
	s_mul_i32 s33, s35, s38
	s_wait_alu 0xfffe
	s_add_nc_u64 s[40:41], s[2:3], s[40:41]
	s_mul_hi_u32 s31, s35, s38
	s_mul_hi_u32 s42, s35, s39
	s_add_co_u32 s2, s40, s33
	s_wait_alu 0xfffe
	s_add_co_ci_u32 s2, s41, s31
	s_mul_i32 s38, s35, s39
	s_add_co_ci_u32 s39, s42, 0
	s_wait_alu 0xfffe
	s_add_nc_u64 s[38:39], s[2:3], s[38:39]
	s_wait_alu 0xfffe
	v_add_co_u32 v2, s2, s34, s38
	s_delay_alu instid0(VALU_DEP_1) | instskip(SKIP_1) | instid1(VALU_DEP_1)
	s_cmp_lg_u32 s2, 0
	s_add_co_ci_u32 s35, s35, s39
	v_readfirstlane_b32 s34, v2
	s_wait_alu 0xfffe
	s_delay_alu instid0(VALU_DEP_1)
	s_mul_u64 s[36:37], s[36:37], s[34:35]
	s_wait_alu 0xfffe
	s_mul_hi_u32 s39, s34, s37
	s_mul_i32 s38, s34, s37
	s_mul_hi_u32 s2, s34, s36
	s_mul_i32 s33, s35, s36
	s_wait_alu 0xfffe
	s_add_nc_u64 s[38:39], s[2:3], s[38:39]
	s_mul_hi_u32 s31, s35, s36
	s_mul_hi_u32 s34, s35, s37
	s_wait_alu 0xfffe
	s_add_co_u32 s2, s38, s33
	s_add_co_ci_u32 s2, s39, s31
	s_mul_i32 s36, s35, s37
	s_add_co_ci_u32 s37, s34, 0
	s_wait_alu 0xfffe
	s_add_nc_u64 s[36:37], s[2:3], s[36:37]
	s_wait_alu 0xfffe
	v_add_co_u32 v8, s2, v2, s36
	s_delay_alu instid0(VALU_DEP_1) | instskip(SKIP_1) | instid1(VALU_DEP_1)
	s_cmp_lg_u32 s2, 0
	s_add_co_ci_u32 s2, s35, s37
	v_mul_hi_u32 v12, v6, v8
	s_wait_alu 0xfffe
	v_mad_co_u64_u32 v[2:3], null, v6, s2, 0
	v_mad_co_u64_u32 v[8:9], null, v7, v8, 0
	;; [unrolled: 1-line block ×3, first 2 shown]
	s_delay_alu instid0(VALU_DEP_3) | instskip(SKIP_1) | instid1(VALU_DEP_4)
	v_add_co_u32 v2, vcc_lo, v12, v2
	s_wait_alu 0xfffd
	v_add_co_ci_u32_e32 v3, vcc_lo, 0, v3, vcc_lo
	s_delay_alu instid0(VALU_DEP_2) | instskip(SKIP_1) | instid1(VALU_DEP_2)
	v_add_co_u32 v2, vcc_lo, v2, v8
	s_wait_alu 0xfffd
	v_add_co_ci_u32_e32 v2, vcc_lo, v3, v9, vcc_lo
	s_wait_alu 0xfffd
	v_add_co_ci_u32_e32 v3, vcc_lo, 0, v11, vcc_lo
	s_delay_alu instid0(VALU_DEP_2) | instskip(SKIP_1) | instid1(VALU_DEP_2)
	v_add_co_u32 v8, vcc_lo, v2, v10
	s_wait_alu 0xfffd
	v_add_co_ci_u32_e32 v9, vcc_lo, 0, v3, vcc_lo
	s_delay_alu instid0(VALU_DEP_2) | instskip(SKIP_1) | instid1(VALU_DEP_3)
	v_mul_lo_u32 v10, s29, v8
	v_mad_co_u64_u32 v[2:3], null, s28, v8, 0
	v_mul_lo_u32 v11, s28, v9
	s_delay_alu instid0(VALU_DEP_2) | instskip(NEXT) | instid1(VALU_DEP_2)
	v_sub_co_u32 v2, vcc_lo, v6, v2
	v_add3_u32 v3, v3, v11, v10
	s_delay_alu instid0(VALU_DEP_1) | instskip(SKIP_1) | instid1(VALU_DEP_1)
	v_sub_nc_u32_e32 v10, v7, v3
	s_wait_alu 0xfffd
	v_subrev_co_ci_u32_e64 v10, s2, s29, v10, vcc_lo
	v_add_co_u32 v11, s2, v8, 2
	s_wait_alu 0xf1ff
	v_add_co_ci_u32_e64 v12, s2, 0, v9, s2
	v_sub_co_u32 v13, s2, v2, s28
	v_sub_co_ci_u32_e32 v3, vcc_lo, v7, v3, vcc_lo
	s_wait_alu 0xf1ff
	v_subrev_co_ci_u32_e64 v10, s2, 0, v10, s2
	s_delay_alu instid0(VALU_DEP_3) | instskip(NEXT) | instid1(VALU_DEP_3)
	v_cmp_le_u32_e32 vcc_lo, s28, v13
	v_cmp_eq_u32_e64 s2, s29, v3
	s_wait_alu 0xfffd
	v_cndmask_b32_e64 v13, 0, -1, vcc_lo
	v_cmp_le_u32_e32 vcc_lo, s29, v10
	s_wait_alu 0xfffd
	v_cndmask_b32_e64 v14, 0, -1, vcc_lo
	v_cmp_le_u32_e32 vcc_lo, s28, v2
	;; [unrolled: 3-line block ×3, first 2 shown]
	s_wait_alu 0xfffd
	v_cndmask_b32_e64 v15, 0, -1, vcc_lo
	v_cmp_eq_u32_e32 vcc_lo, s29, v10
	s_wait_alu 0xf1ff
	s_delay_alu instid0(VALU_DEP_2)
	v_cndmask_b32_e64 v2, v15, v2, s2
	s_wait_alu 0xfffd
	v_cndmask_b32_e32 v10, v14, v13, vcc_lo
	v_add_co_u32 v13, vcc_lo, v8, 1
	s_wait_alu 0xfffd
	v_add_co_ci_u32_e32 v14, vcc_lo, 0, v9, vcc_lo
	s_delay_alu instid0(VALU_DEP_3) | instskip(SKIP_1) | instid1(VALU_DEP_2)
	v_cmp_ne_u32_e32 vcc_lo, 0, v10
	s_wait_alu 0xfffd
	v_dual_cndmask_b32 v3, v14, v12 :: v_dual_cndmask_b32 v10, v13, v11
	v_cmp_ne_u32_e32 vcc_lo, 0, v2
	s_wait_alu 0xfffd
	s_delay_alu instid0(VALU_DEP_2)
	v_dual_cndmask_b32 v63, v9, v3 :: v_dual_cndmask_b32 v62, v8, v10
.LBB0_4:                                ;   in Loop: Header=BB0_2 Depth=1
	s_wait_alu 0xfffe
	s_and_not1_saveexec_b32 s2, s30
	s_cbranch_execz .LBB0_6
; %bb.5:                                ;   in Loop: Header=BB0_2 Depth=1
	v_cvt_f32_u32_e32 v2, s28
	s_sub_co_i32 s30, 0, s28
	v_mov_b32_e32 v63, v1
	s_delay_alu instid0(VALU_DEP_2) | instskip(NEXT) | instid1(TRANS32_DEP_1)
	v_rcp_iflag_f32_e32 v2, v2
	v_mul_f32_e32 v2, 0x4f7ffffe, v2
	s_delay_alu instid0(VALU_DEP_1) | instskip(SKIP_1) | instid1(VALU_DEP_1)
	v_cvt_u32_f32_e32 v2, v2
	s_wait_alu 0xfffe
	v_mul_lo_u32 v3, s30, v2
	s_delay_alu instid0(VALU_DEP_1) | instskip(NEXT) | instid1(VALU_DEP_1)
	v_mul_hi_u32 v3, v2, v3
	v_add_nc_u32_e32 v2, v2, v3
	s_delay_alu instid0(VALU_DEP_1) | instskip(NEXT) | instid1(VALU_DEP_1)
	v_mul_hi_u32 v2, v6, v2
	v_mul_lo_u32 v3, v2, s28
	v_add_nc_u32_e32 v8, 1, v2
	s_delay_alu instid0(VALU_DEP_2) | instskip(NEXT) | instid1(VALU_DEP_1)
	v_sub_nc_u32_e32 v3, v6, v3
	v_subrev_nc_u32_e32 v9, s28, v3
	v_cmp_le_u32_e32 vcc_lo, s28, v3
	s_wait_alu 0xfffd
	s_delay_alu instid0(VALU_DEP_2) | instskip(NEXT) | instid1(VALU_DEP_1)
	v_dual_cndmask_b32 v3, v3, v9 :: v_dual_cndmask_b32 v2, v2, v8
	v_cmp_le_u32_e32 vcc_lo, s28, v3
	s_delay_alu instid0(VALU_DEP_2) | instskip(SKIP_1) | instid1(VALU_DEP_1)
	v_add_nc_u32_e32 v8, 1, v2
	s_wait_alu 0xfffd
	v_cndmask_b32_e32 v62, v2, v8, vcc_lo
.LBB0_6:                                ;   in Loop: Header=BB0_2 Depth=1
	s_wait_alu 0xfffe
	s_or_b32 exec_lo, exec_lo, s2
	v_mul_lo_u32 v8, v63, s28
	s_delay_alu instid0(VALU_DEP_2)
	v_mul_lo_u32 v9, v62, s29
	s_load_b64 s[30:31], s[22:23], 0x0
	v_mad_co_u64_u32 v[2:3], null, v62, s28, 0
	s_load_b64 s[28:29], s[20:21], 0x0
	s_add_nc_u64 s[24:25], s[24:25], 1
	s_add_nc_u64 s[20:21], s[20:21], 8
	s_wait_alu 0xfffe
	v_cmp_ge_u64_e64 s2, s[24:25], s[6:7]
	s_add_nc_u64 s[22:23], s[22:23], 8
	s_add_nc_u64 s[26:27], s[26:27], 8
	v_add3_u32 v3, v3, v9, v8
	v_sub_co_u32 v2, vcc_lo, v6, v2
	s_wait_alu 0xfffd
	s_delay_alu instid0(VALU_DEP_2) | instskip(SKIP_2) | instid1(VALU_DEP_1)
	v_sub_co_ci_u32_e32 v3, vcc_lo, v7, v3, vcc_lo
	s_and_b32 vcc_lo, exec_lo, s2
	s_wait_kmcnt 0x0
	v_mul_lo_u32 v6, s30, v3
	v_mul_lo_u32 v7, s31, v2
	v_mad_co_u64_u32 v[4:5], null, s30, v2, v[4:5]
	v_mul_lo_u32 v3, s28, v3
	v_mul_lo_u32 v8, s29, v2
	v_mad_co_u64_u32 v[60:61], null, s28, v2, v[60:61]
	s_delay_alu instid0(VALU_DEP_4) | instskip(NEXT) | instid1(VALU_DEP_2)
	v_add3_u32 v5, v7, v5, v6
	v_add3_u32 v61, v8, v61, v3
	s_wait_alu 0xfffe
	s_cbranch_vccnz .LBB0_9
; %bb.7:                                ;   in Loop: Header=BB0_2 Depth=1
	v_dual_mov_b32 v6, v62 :: v_dual_mov_b32 v7, v63
	s_branch .LBB0_2
.LBB0_8:
	v_dual_mov_b32 v61, v5 :: v_dual_mov_b32 v60, v4
	s_delay_alu instid0(VALU_DEP_2)
	v_dual_mov_b32 v63, v7 :: v_dual_mov_b32 v62, v6
.LBB0_9:
	s_load_b64 s[0:1], s[0:1], 0x28
	v_mul_hi_u32 v1, 0x97b425f, v0
	s_lshl_b64 s[6:7], s[6:7], 3
                                        ; implicit-def: $vgpr72
                                        ; implicit-def: $vgpr74
                                        ; implicit-def: $vgpr75
                                        ; implicit-def: $vgpr73
	s_wait_kmcnt 0x0
	v_cmp_gt_u64_e32 vcc_lo, s[0:1], v[62:63]
	v_cmp_le_u64_e64 s0, s[0:1], v[62:63]
	s_delay_alu instid0(VALU_DEP_1)
	s_and_saveexec_b32 s1, s0
	s_wait_alu 0xfffe
	s_xor_b32 s0, exec_lo, s1
; %bb.10:
	v_mul_u32_u24_e32 v1, 27, v1
                                        ; implicit-def: $vgpr4_vgpr5
	s_delay_alu instid0(VALU_DEP_1) | instskip(NEXT) | instid1(VALU_DEP_1)
	v_sub_nc_u32_e32 v72, v0, v1
                                        ; implicit-def: $vgpr1
                                        ; implicit-def: $vgpr0
	v_add_nc_u32_e32 v74, 27, v72
	v_add_nc_u32_e32 v75, 54, v72
	v_add_nc_u32_e32 v73, 0x51, v72
; %bb.11:
	s_wait_alu 0xfffe
	s_or_saveexec_b32 s1, s0
	s_add_nc_u64 s[2:3], s[14:15], s[6:7]
                                        ; implicit-def: $vgpr26_vgpr27
                                        ; implicit-def: $vgpr22_vgpr23
                                        ; implicit-def: $vgpr30_vgpr31
                                        ; implicit-def: $vgpr34_vgpr35
                                        ; implicit-def: $vgpr38_vgpr39
                                        ; implicit-def: $vgpr42_vgpr43
                                        ; implicit-def: $vgpr14_vgpr15
                                        ; implicit-def: $vgpr10_vgpr11
                                        ; implicit-def: $vgpr6_vgpr7
                                        ; implicit-def: $vgpr2_vgpr3
	s_wait_alu 0xfffe
	s_xor_b32 exec_lo, exec_lo, s1
	s_cbranch_execz .LBB0_13
; %bb.12:
	v_mul_u32_u24_e32 v1, 27, v1
	s_add_nc_u64 s[6:7], s[12:13], s[6:7]
	v_lshlrev_b64_e32 v[4:5], 4, v[4:5]
	s_load_b64 s[6:7], s[6:7], 0x0
	s_delay_alu instid0(VALU_DEP_2) | instskip(NEXT) | instid1(VALU_DEP_1)
	v_sub_nc_u32_e32 v72, v0, v1
	v_add_nc_u32_e32 v20, 0x6c, v72
	v_add_nc_u32_e32 v74, 27, v72
	v_mad_co_u64_u32 v[0:1], null, s18, v72, 0
	v_add_nc_u32_e32 v25, 0xa2, v72
	s_delay_alu instid0(VALU_DEP_4) | instskip(SKIP_4) | instid1(VALU_DEP_4)
	v_mad_co_u64_u32 v[16:17], null, s18, v20, 0
	v_add_nc_u32_e32 v75, 54, v72
	v_mad_co_u64_u32 v[2:3], null, s18, v74, 0
	v_add_nc_u32_e32 v27, 0xbd, v72
	v_add_nc_u32_e32 v33, 0xf3, v72
	v_mad_co_u64_u32 v[6:7], null, s18, v75, 0
	s_wait_kmcnt 0x0
	v_mul_lo_u32 v14, s7, v62
	v_mul_lo_u32 v15, s6, v63
	v_mad_co_u64_u32 v[10:11], null, s6, v62, 0
	v_mad_co_u64_u32 v[12:13], null, s19, v72, v[1:2]
	v_mov_b32_e32 v1, v3
	v_dual_mov_b32 v3, v7 :: v_dual_add_nc_u32 v30, 0xd8, v72
	s_delay_alu instid0(VALU_DEP_4) | instskip(NEXT) | instid1(VALU_DEP_3)
	v_add3_u32 v11, v11, v15, v14
	v_mad_co_u64_u32 v[13:14], null, s19, v74, v[1:2]
	s_delay_alu instid0(VALU_DEP_3) | instskip(SKIP_2) | instid1(VALU_DEP_4)
	v_mad_co_u64_u32 v[14:15], null, s19, v75, v[3:4]
	v_add_nc_u32_e32 v15, 0x87, v72
	v_mov_b32_e32 v1, v12
	v_mov_b32_e32 v3, v13
	s_delay_alu instid0(VALU_DEP_3) | instskip(SKIP_1) | instid1(VALU_DEP_4)
	v_mad_co_u64_u32 v[18:19], null, s18, v15, 0
	v_add_nc_u32_e32 v73, 0x51, v72
	v_lshlrev_b64_e32 v[0:1], 4, v[0:1]
	s_delay_alu instid0(VALU_DEP_4) | instskip(NEXT) | instid1(VALU_DEP_3)
	v_lshlrev_b64_e32 v[2:3], 4, v[2:3]
	v_mad_co_u64_u32 v[8:9], null, s18, v73, 0
	s_delay_alu instid0(VALU_DEP_1) | instskip(SKIP_1) | instid1(VALU_DEP_2)
	v_mov_b32_e32 v7, v9
	v_lshlrev_b64_e32 v[9:10], 4, v[10:11]
	v_mad_co_u64_u32 v[11:12], null, s19, v73, v[7:8]
	s_delay_alu instid0(VALU_DEP_2) | instskip(SKIP_1) | instid1(VALU_DEP_3)
	v_add_co_u32 v9, s0, s8, v9
	s_wait_alu 0xf1ff
	v_add_co_ci_u32_e64 v10, s0, s9, v10, s0
	v_mov_b32_e32 v7, v14
	s_delay_alu instid0(VALU_DEP_3) | instskip(SKIP_1) | instid1(VALU_DEP_3)
	v_add_co_u32 v31, s0, v9, v4
	s_wait_alu 0xf1ff
	v_add_co_ci_u32_e64 v32, s0, v10, v5, s0
	s_delay_alu instid0(VALU_DEP_3) | instskip(NEXT) | instid1(VALU_DEP_3)
	v_lshlrev_b64_e32 v[12:13], 4, v[6:7]
	v_add_co_u32 v0, s0, v31, v0
	v_mov_b32_e32 v9, v11
	s_wait_alu 0xf1ff
	v_add_co_ci_u32_e64 v1, s0, v32, v1, s0
	v_add_co_u32 v4, s0, v31, v2
	s_wait_alu 0xf1ff
	v_add_co_ci_u32_e64 v5, s0, v32, v3, s0
	v_add_co_u32 v10, s0, v31, v12
	v_mov_b32_e32 v12, v17
	v_lshlrev_b64_e32 v[8:9], 4, v[8:9]
	s_wait_alu 0xf1ff
	v_add_co_ci_u32_e64 v11, s0, v32, v13, s0
	s_clause 0x1
	global_load_b128 v[0:3], v[0:1], off
	global_load_b128 v[4:7], v[4:5], off
	v_mad_co_u64_u32 v[12:13], null, s19, v20, v[12:13]
	v_add_co_u32 v13, s0, v31, v8
	v_mov_b32_e32 v8, v19
	v_mad_co_u64_u32 v[20:21], null, s18, v25, 0
	s_wait_alu 0xf1ff
	v_add_co_ci_u32_e64 v14, s0, v32, v9, s0
	s_delay_alu instid0(VALU_DEP_3)
	v_mad_co_u64_u32 v[22:23], null, s19, v15, v[8:9]
	v_mad_co_u64_u32 v[23:24], null, s18, v27, 0
	v_mov_b32_e32 v17, v12
	s_clause 0x1
	global_load_b128 v[8:11], v[10:11], off
	global_load_b128 v[12:15], v[13:14], off
	v_mov_b32_e32 v19, v22
	v_mad_co_u64_u32 v[21:22], null, s19, v25, v[21:22]
	v_mov_b32_e32 v22, v24
	v_mad_co_u64_u32 v[25:26], null, s18, v30, 0
	v_lshlrev_b64_e32 v[16:17], 4, v[16:17]
	v_lshlrev_b64_e32 v[18:19], 4, v[18:19]
	s_delay_alu instid0(VALU_DEP_4)
	v_mad_co_u64_u32 v[27:28], null, s19, v27, v[22:23]
	v_mad_co_u64_u32 v[28:29], null, s18, v33, 0
	v_mov_b32_e32 v22, v26
	v_add_co_u32 v16, s0, v31, v16
	v_lshlrev_b64_e32 v[20:21], 4, v[20:21]
	v_mov_b32_e32 v24, v27
	s_delay_alu instid0(VALU_DEP_4) | instskip(SKIP_4) | instid1(VALU_DEP_3)
	v_mad_co_u64_u32 v[26:27], null, s19, v30, v[22:23]
	v_mov_b32_e32 v22, v29
	s_wait_alu 0xf1ff
	v_add_co_ci_u32_e64 v17, s0, v32, v17, s0
	v_add_co_u32 v18, s0, v31, v18
	v_mad_co_u64_u32 v[29:30], null, s19, v33, v[22:23]
	v_lshlrev_b64_e32 v[22:23], 4, v[23:24]
	s_wait_alu 0xf1ff
	v_add_co_ci_u32_e64 v19, s0, v32, v19, s0
	v_add_co_u32 v20, s0, v31, v20
	v_lshlrev_b64_e32 v[24:25], 4, v[25:26]
	s_wait_alu 0xf1ff
	v_add_co_ci_u32_e64 v21, s0, v32, v21, s0
	v_add_co_u32 v22, s0, v31, v22
	;; [unrolled: 4-line block ×3, first 2 shown]
	s_wait_alu 0xf1ff
	v_add_co_ci_u32_e64 v25, s0, v32, v25, s0
	v_add_co_u32 v26, s0, v31, v26
	s_wait_alu 0xf1ff
	v_add_co_ci_u32_e64 v27, s0, v32, v27, s0
	s_clause 0x5
	global_load_b128 v[40:43], v[16:17], off
	global_load_b128 v[36:39], v[18:19], off
	;; [unrolled: 1-line block ×6, first 2 shown]
.LBB0_13:
	s_or_b32 exec_lo, exec_lo, s1
	s_wait_loadcnt 0x2
	v_add_f64_e32 v[16:17], v[30:31], v[38:39]
	s_wait_loadcnt 0x0
	v_add_f64_e32 v[18:19], v[26:27], v[14:15]
	v_add_f64_e32 v[45:46], v[28:29], v[36:37]
	v_add_f64_e64 v[51:52], v[12:13], -v[24:25]
	v_add_f64_e32 v[47:48], v[24:25], v[12:13]
	v_add_f64_e64 v[49:50], v[36:37], -v[28:29]
	s_mov_b32 s14, 0x134454ff
	s_mov_b32 s15, 0xbfee6f0e
	;; [unrolled: 1-line block ×4, first 2 shown]
	v_add_f64_e32 v[53:54], v[32:33], v[40:41]
	v_add_f64_e64 v[55:56], v[14:15], -v[26:27]
	v_add_f64_e64 v[57:58], v[14:15], -v[38:39]
	;; [unrolled: 1-line block ×5, first 2 shown]
	v_add_f64_e32 v[76:77], v[20:21], v[8:9]
	v_add_f64_e64 v[66:67], v[38:39], -v[30:31]
	s_mov_b32 s12, 0x4755a5e
	s_mov_b32 s13, 0xbfe2cf23
	;; [unrolled: 1-line block ×4, first 2 shown]
	v_add_f64_e32 v[82:83], v[8:9], v[0:1]
	v_add_f64_e64 v[84:85], v[10:11], -v[22:23]
	v_add_f64_e64 v[86:87], v[12:13], -v[36:37]
	;; [unrolled: 1-line block ×5, first 2 shown]
	s_mov_b32 s18, 0x372fe950
	s_mov_b32 s19, 0x3fd3c6ef
	v_add_f64_e64 v[94:95], v[32:33], -v[20:21]
	s_mov_b32 s20, 0x9b97f4a8
	s_mov_b32 s21, 0x3fe9e377
	;; [unrolled: 1-line block ×3, first 2 shown]
	s_wait_alu 0xfffe
	s_mov_b32 s0, s18
	s_mov_b32 s23, 0xbfe9e377
	;; [unrolled: 1-line block ×3, first 2 shown]
	s_load_b64 s[2:3], s[2:3], 0x0
	v_fma_f64 v[16:17], v[16:17], -0.5, v[6:7]
	v_fma_f64 v[18:19], v[18:19], -0.5, v[6:7]
	v_fma_f64 v[45:46], v[45:46], -0.5, v[4:5]
	v_fma_f64 v[47:48], v[47:48], -0.5, v[4:5]
	v_add_f64_e32 v[4:5], v[12:13], v[4:5]
	v_add_f64_e64 v[12:13], v[42:43], -v[34:35]
	v_fma_f64 v[53:54], v[53:54], -0.5, v[0:1]
	v_add_f64_e32 v[57:58], v[64:65], v[57:58]
	v_add_f64_e32 v[64:65], v[70:71], v[68:69]
	v_fma_f64 v[0:1], v[76:77], -0.5, v[0:1]
	v_add_f64_e32 v[82:83], v[40:41], v[82:83]
	v_add_f64_e32 v[86:87], v[88:89], v[86:87]
	;; [unrolled: 1-line block ×3, first 2 shown]
	v_fma_f64 v[78:79], v[51:52], s[6:7], v[16:17]
	v_fma_f64 v[80:81], v[49:50], s[14:15], v[18:19]
	;; [unrolled: 1-line block ×8, first 2 shown]
	v_add_f64_e32 v[90:91], v[36:37], v[4:5]
	v_fma_f64 v[92:93], v[84:85], s[14:15], v[53:54]
	v_fma_f64 v[53:54], v[84:85], s[6:7], v[53:54]
	v_fma_f64 v[96:97], v[12:13], s[6:7], v[0:1]
	v_fma_f64 v[98:99], v[12:13], s[14:15], v[0:1]
	v_fma_f64 v[76:77], v[49:50], s[8:9], v[78:79]
	v_fma_f64 v[78:79], v[51:52], s[8:9], v[80:81]
	v_fma_f64 v[18:19], v[51:52], s[12:13], v[18:19]
	v_fma_f64 v[16:17], v[49:50], s[12:13], v[16:17]
	v_add_f64_e64 v[49:50], v[8:9], -v[40:41]
	v_add_f64_e64 v[51:52], v[20:21], -v[32:33]
	;; [unrolled: 1-line block ×3, first 2 shown]
	v_fma_f64 v[68:69], v[66:67], s[12:13], v[68:69]
	v_fma_f64 v[45:46], v[66:67], s[8:9], v[45:46]
	v_fma_f64 v[100:101], v[55:56], s[12:13], v[70:71]
	v_fma_f64 v[47:48], v[55:56], s[8:9], v[47:48]
	v_add_f64_e32 v[28:29], v[28:29], v[90:91]
	v_fma_f64 v[53:54], v[12:13], s[8:9], v[53:54]
	v_fma_f64 v[55:56], v[84:85], s[12:13], v[96:97]
	v_fma_f64 v[0:1], v[57:58], s[18:19], v[76:77]
	v_fma_f64 v[4:5], v[64:65], s[18:19], v[78:79]
	v_fma_f64 v[66:67], v[64:65], s[18:19], v[18:19]
	v_fma_f64 v[36:37], v[57:58], s[18:19], v[16:17]
	v_fma_f64 v[57:58], v[84:85], s[8:9], v[98:99]
	v_add_f64_e32 v[16:17], v[51:52], v[49:50]
	v_add_f64_e32 v[18:19], v[94:95], v[80:81]
	;; [unrolled: 1-line block ×3, first 2 shown]
	v_fma_f64 v[51:52], v[12:13], s[12:13], v[92:93]
	v_fma_f64 v[70:71], v[86:87], s[18:19], v[68:69]
	;; [unrolled: 1-line block ×5, first 2 shown]
	v_add_f64_e32 v[24:25], v[24:25], v[28:29]
	v_mul_f64_e32 v[45:46], s[12:13], v[0:1]
	v_mul_f64_e32 v[47:48], s[14:15], v[4:5]
	;; [unrolled: 1-line block ×4, first 2 shown]
	v_fma_f64 v[80:81], v[16:17], s[18:19], v[53:54]
	v_add_f64_e32 v[49:50], v[20:21], v[49:50]
	v_fma_f64 v[28:29], v[16:17], s[18:19], v[51:52]
	v_fma_f64 v[16:17], v[18:19], s[18:19], v[55:56]
	;; [unrolled: 1-line block ×7, first 2 shown]
	v_cmp_gt_u32_e64 s0, 9, v72
	v_add_f64_e32 v[45:46], v[24:25], v[49:50]
	v_add_f64_e64 v[51:52], v[49:50], -v[24:25]
	v_and_b32_e32 v24, 3, v44
	v_add_f64_e32 v[47:48], v[28:29], v[57:58]
	v_add_f64_e32 v[53:54], v[16:17], v[85:86]
	;; [unrolled: 1-line block ×4, first 2 shown]
	v_add_f64_e64 v[83:84], v[28:29], -v[57:58]
	v_add_f64_e64 v[85:86], v[16:17], -v[85:86]
	;; [unrolled: 1-line block ×4, first 2 shown]
	v_mul_u32_u24_e32 v57, 0x10e, v24
	v_mul_u32_u24_e32 v24, 10, v72
	v_lshlrev_b32_e32 v80, 3, v73
                                        ; implicit-def: $vgpr58_vgpr59
	s_delay_alu instid0(VALU_DEP_3) | instskip(SKIP_1) | instid1(VALU_DEP_2)
	v_lshl_add_u32 v25, v57, 3, 0
	v_lshlrev_b32_e32 v81, 3, v57
	v_lshl_add_u32 v82, v24, 3, v25
	v_lshl_add_u32 v77, v72, 3, v25
	;; [unrolled: 1-line block ×4, first 2 shown]
	ds_store_b128 v82, v[45:48]
	ds_store_b128 v82, v[53:56] offset:16
	ds_store_b128 v82, v[49:52] offset:32
	;; [unrolled: 1-line block ×4, first 2 shown]
	v_mad_i32_i24 v76, 0xffffffb8, v72, v82
	global_wb scope:SCOPE_SE
	s_wait_dscnt 0x0
	s_wait_kmcnt 0x0
	s_barrier_signal -1
	s_barrier_wait -1
	global_inv scope:SCOPE_SE
	ds_load_2addr_b64 v[52:55], v76 offset0:90 offset1:117
	ds_load_2addr_b64 v[44:47], v76 offset0:144 offset1:180
	;; [unrolled: 1-line block ×3, first 2 shown]
	ds_load_b64 v[28:29], v77
	ds_load_b64 v[24:25], v78
	ds_load_b64 v[16:17], v79
	s_and_saveexec_b32 s1, s0
	s_cbranch_execz .LBB0_15
; %bb.14:
	v_add3_u32 v18, 0, v80, v81
	v_add_nc_u32_e32 v56, 0x400, v76
	ds_load_b64 v[18:19], v18
	ds_load_2addr_b64 v[56:59], v56 offset0:43 offset1:133
.LBB0_15:
	s_wait_alu 0xfffe
	s_or_b32 exec_lo, exec_lo, s1
	v_add_f64_e32 v[83:84], v[34:35], v[42:43]
	v_add_f64_e32 v[85:86], v[22:23], v[10:11]
	;; [unrolled: 1-line block ×3, first 2 shown]
	v_add_f64_e64 v[8:9], v[8:9], -v[20:21]
	v_add_f64_e32 v[6:7], v[14:15], v[6:7]
	v_add_f64_e64 v[14:15], v[40:41], -v[32:33]
	v_add_f64_e64 v[32:33], v[10:11], -v[42:43]
	v_add_f64_e64 v[40:41], v[22:23], -v[34:35]
	v_add_f64_e64 v[10:11], v[42:43], -v[10:11]
	v_mul_f64_e32 v[70:71], s[8:9], v[70:71]
	v_mul_f64_e32 v[68:69], s[6:7], v[68:69]
	;; [unrolled: 1-line block ×4, first 2 shown]
	global_wb scope:SCOPE_SE
	s_wait_dscnt 0x0
	s_barrier_signal -1
	s_barrier_wait -1
	global_inv scope:SCOPE_SE
	v_fma_f64 v[20:21], v[83:84], -0.5, v[2:3]
	v_fma_f64 v[2:3], v[85:86], -0.5, v[2:3]
	v_add_f64_e32 v[42:43], v[42:43], v[87:88]
	v_add_f64_e32 v[6:7], v[38:39], v[6:7]
	v_add_f64_e64 v[38:39], v[34:35], -v[22:23]
	v_add_f64_e32 v[32:33], v[40:41], v[32:33]
	v_fma_f64 v[0:1], v[0:1], s[20:21], v[70:71]
	v_fma_f64 v[40:41], v[4:5], s[18:19], v[68:69]
	;; [unrolled: 1-line block ×6, first 2 shown]
	v_add_f64_e32 v[34:35], v[34:35], v[42:43]
	v_add_f64_e32 v[6:7], v[30:31], v[6:7]
	;; [unrolled: 1-line block ×3, first 2 shown]
	v_fma_f64 v[42:43], v[64:65], s[6:7], -v[66:67]
	v_fma_f64 v[30:31], v[14:15], s[8:9], v[83:84]
	v_fma_f64 v[38:39], v[8:9], s[8:9], v[85:86]
	;; [unrolled: 1-line block ×4, first 2 shown]
	v_add_f64_e32 v[14:15], v[22:23], v[34:35]
	v_add_f64_e32 v[6:7], v[26:27], v[6:7]
	v_fma_f64 v[26:27], v[12:13], s[8:9], -v[36:37]
	v_fma_f64 v[20:21], v[32:33], s[18:19], v[30:31]
	v_fma_f64 v[22:23], v[10:11], s[18:19], v[38:39]
	;; [unrolled: 1-line block ×4, first 2 shown]
	v_add_f64_e32 v[4:5], v[6:7], v[14:15]
	v_add_f64_e64 v[10:11], v[14:15], -v[6:7]
	v_add_f64_e32 v[6:7], v[20:21], v[0:1]
	v_add_f64_e32 v[12:13], v[22:23], v[40:41]
	;; [unrolled: 1-line block ×4, first 2 shown]
	v_add_f64_e64 v[20:21], v[20:21], -v[0:1]
	v_add_f64_e64 v[22:23], v[22:23], -v[40:41]
	;; [unrolled: 1-line block ×4, first 2 shown]
	ds_store_b128 v82, v[4:7]
	ds_store_b128 v82, v[12:15] offset:16
	ds_store_b128 v82, v[8:11] offset:32
	;; [unrolled: 1-line block ×4, first 2 shown]
	global_wb scope:SCOPE_SE
	s_wait_dscnt 0x0
	s_barrier_signal -1
	s_barrier_wait -1
	global_inv scope:SCOPE_SE
	ds_load_2addr_b64 v[20:23], v76 offset0:90 offset1:117
	ds_load_2addr_b64 v[12:15], v76 offset0:144 offset1:180
	;; [unrolled: 1-line block ×3, first 2 shown]
	ds_load_b64 v[30:31], v77
	ds_load_b64 v[26:27], v78
	;; [unrolled: 1-line block ×3, first 2 shown]
                                        ; implicit-def: $vgpr6_vgpr7
	s_and_saveexec_b32 s1, s0
	s_cbranch_execz .LBB0_17
; %bb.16:
	v_add3_u32 v2, 0, v80, v81
	v_add_nc_u32_e32 v4, 0x400, v76
	ds_load_b64 v[2:3], v2
	ds_load_2addr_b64 v[4:7], v4 offset0:43 offset1:133
.LBB0_17:
	s_wait_alu 0xfffe
	s_or_b32 exec_lo, exec_lo, s1
	v_and_b32_e32 v32, 0xff, v72
	v_and_b32_e32 v33, 0xff, v74
	;; [unrolled: 1-line block ×4, first 2 shown]
	s_mov_b32 s6, 0xe8584caa
	v_mul_lo_u16 v32, 0xcd, v32
	v_mul_lo_u16 v33, 0xcd, v33
	;; [unrolled: 1-line block ×3, first 2 shown]
	s_mov_b32 s7, 0xbfebb67a
	s_mov_b32 s9, 0x3febb67a
	v_lshrrev_b16 v116, 11, v32
	v_mul_lo_u16 v32, 0xcd, v83
	v_lshrrev_b16 v117, 11, v33
	v_lshrrev_b16 v118, 11, v34
	s_wait_alu 0xfffe
	s_mov_b32 s8, s6
	v_mul_lo_u16 v33, v116, 10
	v_lshrrev_b16 v32, 11, v32
	v_mul_lo_u16 v34, v117, 10
	v_mul_lo_u16 v35, v118, 10
	s_delay_alu instid0(VALU_DEP_4) | instskip(NEXT) | instid1(VALU_DEP_4)
	v_sub_nc_u16 v33, v72, v33
	v_mul_lo_u16 v32, v32, 10
	s_delay_alu instid0(VALU_DEP_4) | instskip(NEXT) | instid1(VALU_DEP_4)
	v_sub_nc_u16 v34, v74, v34
	v_sub_nc_u16 v35, v75, v35
	s_delay_alu instid0(VALU_DEP_4) | instskip(NEXT) | instid1(VALU_DEP_4)
	v_and_b32_e32 v119, 0xff, v33
	v_sub_nc_u16 v32, v73, v32
	s_delay_alu instid0(VALU_DEP_4) | instskip(NEXT) | instid1(VALU_DEP_4)
	v_and_b32_e32 v120, 0xff, v34
	v_and_b32_e32 v121, 0xff, v35
	s_delay_alu instid0(VALU_DEP_4) | instskip(NEXT) | instid1(VALU_DEP_4)
	v_lshlrev_b32_e32 v40, 5, v119
	v_and_b32_e32 v122, 0xff, v32
	s_delay_alu instid0(VALU_DEP_4) | instskip(NEXT) | instid1(VALU_DEP_4)
	v_lshlrev_b32_e32 v64, 5, v120
	v_lshlrev_b32_e32 v65, 5, v121
	s_clause 0x1
	global_load_b128 v[32:35], v40, s[4:5]
	global_load_b128 v[36:39], v64, s[4:5]
	v_lshlrev_b32_e32 v70, 5, v122
	s_clause 0x5
	global_load_b128 v[40:43], v40, s[4:5] offset:16
	global_load_b128 v[66:69], v64, s[4:5] offset:16
	global_load_b128 v[84:87], v65, s[4:5]
	global_load_b128 v[88:91], v65, s[4:5] offset:16
	global_load_b128 v[92:95], v70, s[4:5]
	global_load_b128 v[96:99], v70, s[4:5] offset:16
	global_wb scope:SCOPE_SE
	s_wait_loadcnt_dscnt 0x0
	s_barrier_signal -1
	s_barrier_wait -1
	global_inv scope:SCOPE_SE
	v_mul_f64_e32 v[100:101], v[14:15], v[42:43]
	v_mul_f64_e32 v[102:103], v[8:9], v[68:69]
	;; [unrolled: 1-line block ×14, first 2 shown]
	v_fma_f64 v[42:43], v[52:53], v[32:33], v[64:65]
	v_fma_f64 v[34:35], v[54:55], v[36:37], v[70:71]
	v_mul_f64_e32 v[70:71], v[56:57], v[94:95]
	v_fma_f64 v[64:65], v[46:47], v[40:41], v[100:101]
	v_mul_f64_e32 v[94:95], v[58:59], v[98:99]
	v_fma_f64 v[52:53], v[48:49], v[66:67], v[102:103]
	v_fma_f64 v[46:47], v[44:45], v[84:85], v[104:105]
	;; [unrolled: 1-line block ×5, first 2 shown]
	v_fma_f64 v[56:57], v[20:21], v[32:33], -v[112:113]
	v_fma_f64 v[20:21], v[14:15], v[40:41], -v[114:115]
	;; [unrolled: 1-line block ×6, first 2 shown]
	v_lshlrev_b32_e32 v86, 3, v121
	v_add_f64_e32 v[12:13], v[28:29], v[42:43]
	v_add_f64_e32 v[32:33], v[24:25], v[34:35]
	v_fma_f64 v[70:71], v[4:5], v[92:93], -v[70:71]
	v_add_f64_e32 v[8:9], v[42:43], v[64:65]
	v_fma_f64 v[68:69], v[6:7], v[96:97], -v[94:95]
	v_add_f64_e32 v[10:11], v[34:35], v[52:53]
	v_add_f64_e32 v[36:37], v[16:17], v[46:47]
	;; [unrolled: 1-line block ×5, first 2 shown]
	v_add_f64_e64 v[14:15], v[56:57], -v[20:21]
	v_add_f64_e32 v[12:13], v[12:13], v[64:65]
	v_fma_f64 v[8:9], v[8:9], -0.5, v[28:29]
	v_add_f64_e64 v[28:29], v[58:59], -v[22:23]
	v_fma_f64 v[10:11], v[10:11], -0.5, v[24:25]
	v_add_f64_e64 v[24:25], v[66:67], -v[54:55]
	v_fma_f64 v[4:5], v[4:5], -0.5, v[16:17]
	v_add_f64_e64 v[16:17], v[70:71], -v[68:69]
	v_fma_f64 v[6:7], v[6:7], -0.5, v[18:19]
	v_add_f64_e32 v[18:19], v[32:33], v[52:53]
	v_add_f64_e32 v[32:33], v[38:39], v[48:49]
	;; [unrolled: 1-line block ×3, first 2 shown]
	v_fma_f64 v[38:39], v[14:15], s[6:7], v[8:9]
	s_wait_alu 0xfffe
	v_fma_f64 v[8:9], v[14:15], s[8:9], v[8:9]
	v_fma_f64 v[14:15], v[28:29], s[6:7], v[10:11]
	;; [unrolled: 1-line block ×7, first 2 shown]
	v_and_b32_e32 v16, 0xffff, v116
	v_and_b32_e32 v17, 0xffff, v117
	;; [unrolled: 1-line block ×3, first 2 shown]
	v_lshlrev_b32_e32 v25, 3, v119
	v_lshlrev_b32_e32 v28, 3, v120
	v_mad_u32_u24 v16, 0xf0, v16, 0
	v_mad_u32_u24 v17, 0xf0, v17, 0
	;; [unrolled: 1-line block ×3, first 2 shown]
	v_lshlrev_b32_e32 v24, 3, v122
	s_delay_alu instid0(VALU_DEP_4) | instskip(NEXT) | instid1(VALU_DEP_4)
	v_add3_u32 v25, v16, v25, v81
	v_add3_u32 v28, v17, v28, v81
	s_delay_alu instid0(VALU_DEP_4)
	v_add3_u32 v29, v29, v86, v81
	ds_store_2addr_b64 v25, v[12:13], v[38:39] offset1:10
	ds_store_b64 v25, v[8:9] offset:160
	ds_store_2addr_b64 v28, v[18:19], v[14:15] offset1:10
	ds_store_b64 v28, v[10:11] offset:160
	;; [unrolled: 2-line block ×3, first 2 shown]
	s_and_saveexec_b32 s1, s0
	s_cbranch_execz .LBB0_19
; %bb.18:
	v_add3_u32 v8, 0, v24, v81
	ds_store_2addr_b64 v8, v[32:33], v[4:5] offset0:240 offset1:250
	ds_store_b64 v8, v[6:7] offset:2080
.LBB0_19:
	s_wait_alu 0xfffe
	s_or_b32 exec_lo, exec_lo, s1
	global_wb scope:SCOPE_SE
	s_wait_dscnt 0x0
	s_barrier_signal -1
	s_barrier_wait -1
	global_inv scope:SCOPE_SE
	ds_load_2addr_b64 v[12:15], v76 offset0:90 offset1:117
	ds_load_2addr_b64 v[8:11], v76 offset0:144 offset1:180
	;; [unrolled: 1-line block ×3, first 2 shown]
	ds_load_b64 v[40:41], v77
	ds_load_b64 v[38:39], v78
	;; [unrolled: 1-line block ×3, first 2 shown]
	s_and_saveexec_b32 s1, s0
	s_cbranch_execz .LBB0_21
; %bb.20:
	v_add3_u32 v4, 0, v80, v81
	v_add_nc_u32_e32 v5, 0x400, v76
	ds_load_b64 v[32:33], v4
	ds_load_2addr_b64 v[4:7], v5 offset0:43 offset1:133
.LBB0_21:
	s_wait_alu 0xfffe
	s_or_b32 exec_lo, exec_lo, s1
	v_add_f64_e32 v[84:85], v[56:57], v[20:21]
	v_add_f64_e32 v[86:87], v[58:59], v[22:23]
	;; [unrolled: 1-line block ×5, first 2 shown]
	v_add_f64_e64 v[42:43], v[42:43], -v[64:65]
	v_add_f64_e32 v[58:59], v[26:27], v[58:59]
	v_add_f64_e32 v[64:65], v[0:1], v[66:67]
	;; [unrolled: 1-line block ×3, first 2 shown]
	v_add_f64_e64 v[52:53], v[34:35], -v[52:53]
	v_add_f64_e64 v[46:47], v[46:47], -v[50:51]
	;; [unrolled: 1-line block ×3, first 2 shown]
	s_mov_b32 s6, 0xe8584caa
	s_mov_b32 s7, 0x3febb67a
	;; [unrolled: 1-line block ×3, first 2 shown]
	s_wait_alu 0xfffe
	s_mov_b32 s8, s6
	global_wb scope:SCOPE_SE
	s_wait_dscnt 0x0
	s_barrier_signal -1
	s_barrier_wait -1
	global_inv scope:SCOPE_SE
	v_fma_f64 v[30:31], v[84:85], -0.5, v[30:31]
	v_fma_f64 v[26:27], v[86:87], -0.5, v[26:27]
	;; [unrolled: 1-line block ×4, first 2 shown]
	v_add_f64_e32 v[20:21], v[56:57], v[20:21]
	v_add_f64_e32 v[22:23], v[58:59], v[22:23]
	;; [unrolled: 1-line block ×4, first 2 shown]
	v_fma_f64 v[50:51], v[42:43], s[6:7], v[30:31]
	s_wait_alu 0xfffe
	v_fma_f64 v[30:31], v[42:43], s[8:9], v[30:31]
	v_fma_f64 v[42:43], v[52:53], s[6:7], v[26:27]
	;; [unrolled: 1-line block ×7, first 2 shown]
	ds_store_2addr_b64 v25, v[20:21], v[50:51] offset1:10
	ds_store_b64 v25, v[30:31] offset:160
	ds_store_2addr_b64 v28, v[22:23], v[42:43] offset1:10
	ds_store_b64 v28, v[26:27] offset:160
	;; [unrolled: 2-line block ×3, first 2 shown]
	s_and_saveexec_b32 s1, s0
	s_cbranch_execz .LBB0_23
; %bb.22:
	v_add3_u32 v20, 0, v24, v81
	ds_store_2addr_b64 v20, v[34:35], v[0:1] offset0:240 offset1:250
	ds_store_b64 v20, v[2:3] offset:2080
.LBB0_23:
	s_wait_alu 0xfffe
	s_or_b32 exec_lo, exec_lo, s1
	global_wb scope:SCOPE_SE
	s_wait_dscnt 0x0
	s_barrier_signal -1
	s_barrier_wait -1
	global_inv scope:SCOPE_SE
	ds_load_2addr_b64 v[28:31], v76 offset0:90 offset1:117
	ds_load_2addr_b64 v[24:27], v76 offset0:144 offset1:180
	;; [unrolled: 1-line block ×3, first 2 shown]
	ds_load_b64 v[46:47], v77
	ds_load_b64 v[44:45], v78
	;; [unrolled: 1-line block ×3, first 2 shown]
	s_and_saveexec_b32 s1, s0
	s_cbranch_execz .LBB0_25
; %bb.24:
	v_add3_u32 v0, 0, v80, v81
	v_add_nc_u32_e32 v1, 0x400, v76
	ds_load_b64 v[34:35], v0
	ds_load_2addr_b64 v[0:3], v1 offset0:43 offset1:133
.LBB0_25:
	s_wait_alu 0xfffe
	s_or_b32 exec_lo, exec_lo, s1
	v_add_nc_u32_e32 v50, -3, v72
	v_mul_lo_u16 v51, 0x89, v82
	v_cmp_gt_u32_e64 s1, 3, v72
	v_mul_lo_u16 v52, 0x89, v83
	v_dual_mov_b32 v49, 0 :: v_dual_lshlrev_b32 v48, 1, v72
	s_delay_alu instid0(VALU_DEP_4)
	v_lshrrev_b16 v119, 12, v51
	s_wait_alu 0xf1ff
	v_cndmask_b32_e64 v118, v50, v74, s1
	v_lshrrev_b16 v52, 12, v52
	s_mov_b32 s6, 0xe8584caa
	v_lshlrev_b64_e32 v[50:51], 4, v[48:49]
	v_mul_lo_u16 v53, v119, 30
	v_lshlrev_b32_e32 v48, 1, v118
	v_mul_lo_u16 v52, v52, 30
	s_mov_b32 s7, 0xbfebb67a
	s_mov_b32 s9, 0x3febb67a
	v_sub_nc_u16 v53, v75, v53
	v_lshlrev_b64_e32 v[48:49], 4, v[48:49]
	v_sub_nc_u16 v52, v73, v52
	v_add_co_u32 v50, s1, s4, v50
	s_wait_alu 0xf1ff
	v_add_co_ci_u32_e64 v51, s1, s5, v51, s1
	v_and_b32_e32 v120, 0xff, v53
	v_add_co_u32 v48, s1, s4, v48
	v_and_b32_e32 v121, 0xff, v52
	s_wait_alu 0xf1ff
	v_add_co_ci_u32_e64 v49, s1, s5, v49, s1
	v_lshlrev_b32_e32 v52, 5, v120
	s_clause 0x1
	global_load_b128 v[82:85], v[50:51], off offset:336
	global_load_b128 v[86:89], v[50:51], off offset:320
	v_lshlrev_b32_e32 v53, 5, v121
	s_clause 0x5
	global_load_b128 v[90:93], v[48:49], off offset:320
	global_load_b128 v[94:97], v[48:49], off offset:336
	global_load_b128 v[98:101], v52, s[4:5] offset:320
	global_load_b128 v[102:105], v52, s[4:5] offset:336
	;; [unrolled: 1-line block ×4, first 2 shown]
	s_wait_alu 0xfffe
	s_mov_b32 s8, s6
	v_cmp_lt_u32_e64 s1, 2, v72
	global_wb scope:SCOPE_SE
	s_wait_loadcnt_dscnt 0x0
	s_barrier_signal -1
	s_barrier_wait -1
	global_inv scope:SCOPE_SE
	v_mul_f64_e32 v[54:55], v[30:31], v[92:93]
	v_mul_f64_e32 v[56:57], v[20:21], v[96:97]
	;; [unrolled: 1-line block ×16, first 2 shown]
	v_fma_f64 v[58:59], v[16:17], v[94:95], v[56:57]
	v_fma_f64 v[68:69], v[10:11], v[82:83], v[52:53]
	;; [unrolled: 1-line block ×8, first 2 shown]
	v_fma_f64 v[28:29], v[28:29], v[86:87], -v[88:89]
	v_fma_f64 v[4:5], v[26:27], v[82:83], -v[84:85]
	;; [unrolled: 1-line block ×8, first 2 shown]
	v_add_f64_e32 v[8:9], v[66:67], v[68:69]
	v_add_f64_e32 v[10:11], v[52:53], v[58:59]
	v_add_f64_e32 v[12:13], v[40:41], v[66:67]
	v_add_f64_e32 v[0:1], v[54:55], v[64:65]
	v_add_f64_e32 v[16:17], v[38:39], v[52:53]
	v_add_f64_e32 v[2:3], v[48:49], v[56:57]
	v_add_f64_e32 v[18:19], v[36:37], v[54:55]
	v_add_f64_e64 v[14:15], v[28:29], -v[4:5]
	v_add_f64_e32 v[70:71], v[32:33], v[48:49]
	v_fma_f64 v[8:9], v[8:9], -0.5, v[40:41]
	v_add_f64_e64 v[40:41], v[26:27], -v[6:7]
	v_fma_f64 v[10:11], v[10:11], -0.5, v[38:39]
	v_add_f64_e64 v[38:39], v[24:25], -v[20:21]
	;; [unrolled: 2-line block ×3, first 2 shown]
	v_fma_f64 v[2:3], v[2:3], -0.5, v[32:33]
	v_add_f64_e32 v[12:13], v[12:13], v[68:69]
	v_add_f64_e32 v[32:33], v[70:71], v[56:57]
	;; [unrolled: 1-line block ×4, first 2 shown]
	v_and_b32_e32 v70, 0xffff, v119
	v_fma_f64 v[83:84], v[14:15], s[6:7], v[8:9]
	s_wait_alu 0xfffe
	v_fma_f64 v[8:9], v[14:15], s[8:9], v[8:9]
	v_fma_f64 v[14:15], v[40:41], s[6:7], v[10:11]
	;; [unrolled: 1-line block ×7, first 2 shown]
	s_wait_alu 0xf1ff
	v_cndmask_b32_e64 v36, 0, 0x2d0, s1
	v_lshlrev_b32_e32 v37, 3, v118
	s_delay_alu instid0(VALU_DEP_2) | instskip(NEXT) | instid1(VALU_DEP_1)
	v_add_nc_u32_e32 v36, 0, v36
	v_add3_u32 v71, v36, v37, v81
	v_mad_u32_u24 v36, 0x2d0, v70, 0
	v_lshlrev_b32_e32 v37, 3, v120
	v_lshlrev_b32_e32 v70, 3, v121
	s_delay_alu instid0(VALU_DEP_2)
	v_add3_u32 v82, v36, v37, v81
	ds_store_2addr_b64 v76, v[12:13], v[83:84] offset1:30
	ds_store_b64 v76, v[8:9] offset:480
	ds_store_2addr_b64 v71, v[16:17], v[14:15] offset1:30
	ds_store_b64 v71, v[10:11] offset:480
	;; [unrolled: 2-line block ×3, first 2 shown]
	s_and_saveexec_b32 s1, s0
	s_cbranch_execz .LBB0_27
; %bb.26:
	v_add3_u32 v8, 0, v70, v81
	ds_store_2addr_b64 v8, v[32:33], v[0:1] offset0:180 offset1:210
	ds_store_b64 v8, v[2:3] offset:1920
.LBB0_27:
	s_wait_alu 0xfffe
	s_or_b32 exec_lo, exec_lo, s1
	global_wb scope:SCOPE_SE
	s_wait_dscnt 0x0
	s_barrier_signal -1
	s_barrier_wait -1
	global_inv scope:SCOPE_SE
	ds_load_2addr_b64 v[16:19], v76 offset0:90 offset1:117
	ds_load_2addr_b64 v[8:11], v76 offset0:144 offset1:180
	;; [unrolled: 1-line block ×3, first 2 shown]
	ds_load_b64 v[40:41], v77
	ds_load_b64 v[38:39], v78
	;; [unrolled: 1-line block ×3, first 2 shown]
	s_and_saveexec_b32 s1, s0
	s_cbranch_execz .LBB0_29
; %bb.28:
	v_add3_u32 v0, 0, v80, v81
	v_add_nc_u32_e32 v1, 0x400, v76
	ds_load_b64 v[32:33], v0
	ds_load_2addr_b64 v[0:3], v1 offset0:43 offset1:133
.LBB0_29:
	s_wait_alu 0xfffe
	s_or_b32 exec_lo, exec_lo, s1
	v_add_f64_e32 v[83:84], v[28:29], v[4:5]
	v_add_f64_e32 v[89:90], v[30:31], v[22:23]
	;; [unrolled: 1-line block ×5, first 2 shown]
	v_add_f64_e64 v[66:67], v[66:67], -v[68:69]
	v_add_f64_e32 v[26:27], v[44:45], v[26:27]
	v_add_f64_e32 v[30:31], v[34:35], v[30:31]
	v_add_f64_e64 v[48:49], v[48:49], -v[56:57]
	v_add_f64_e32 v[24:25], v[42:43], v[24:25]
	v_add_f64_e64 v[52:53], v[52:53], -v[58:59]
	v_add_f64_e64 v[54:55], v[54:55], -v[64:65]
	s_mov_b32 s6, 0xe8584caa
	s_mov_b32 s7, 0x3febb67a
	;; [unrolled: 1-line block ×3, first 2 shown]
	s_wait_alu 0xfffe
	s_mov_b32 s8, s6
	global_wb scope:SCOPE_SE
	s_wait_dscnt 0x0
	s_barrier_signal -1
	s_barrier_wait -1
	global_inv scope:SCOPE_SE
	v_fma_f64 v[46:47], v[83:84], -0.5, v[46:47]
	v_fma_f64 v[56:57], v[89:90], -0.5, v[34:35]
	;; [unrolled: 1-line block ×4, first 2 shown]
	v_add_f64_e32 v[28:29], v[28:29], v[4:5]
	v_add_f64_e32 v[26:27], v[26:27], v[6:7]
	;; [unrolled: 1-line block ×4, first 2 shown]
	v_fma_f64 v[22:23], v[66:67], s[6:7], v[46:47]
	v_fma_f64 v[4:5], v[48:49], s[6:7], v[56:57]
	s_wait_alu 0xfffe
	v_fma_f64 v[6:7], v[48:49], s[8:9], v[56:57]
	v_fma_f64 v[24:25], v[66:67], s[8:9], v[46:47]
	;; [unrolled: 1-line block ×6, first 2 shown]
	ds_store_2addr_b64 v76, v[28:29], v[22:23] offset1:30
	ds_store_b64 v76, v[24:25] offset:480
	ds_store_2addr_b64 v71, v[26:27], v[30:31] offset1:30
	ds_store_b64 v71, v[44:45] offset:480
	;; [unrolled: 2-line block ×3, first 2 shown]
	s_and_saveexec_b32 s1, s0
	s_cbranch_execz .LBB0_31
; %bb.30:
	v_add3_u32 v20, 0, v70, v81
	ds_store_2addr_b64 v20, v[34:35], v[4:5] offset0:180 offset1:210
	ds_store_b64 v20, v[6:7] offset:1920
.LBB0_31:
	s_wait_alu 0xfffe
	s_or_b32 exec_lo, exec_lo, s1
	global_wb scope:SCOPE_SE
	s_wait_dscnt 0x0
	s_barrier_signal -1
	s_barrier_wait -1
	global_inv scope:SCOPE_SE
	ds_load_2addr_b64 v[20:23], v76 offset0:90 offset1:117
	ds_load_2addr_b64 v[28:31], v76 offset0:144 offset1:180
	;; [unrolled: 1-line block ×3, first 2 shown]
	ds_load_b64 v[48:49], v77
	ds_load_b64 v[44:45], v78
	;; [unrolled: 1-line block ×3, first 2 shown]
	s_and_saveexec_b32 s1, s0
	s_cbranch_execz .LBB0_33
; %bb.32:
	v_add3_u32 v4, 0, v80, v81
	v_add_nc_u32_e32 v5, 0x400, v76
	ds_load_b64 v[34:35], v4
	ds_load_2addr_b64 v[4:7], v5 offset0:43 offset1:133
.LBB0_33:
	s_wait_alu 0xfffe
	s_or_b32 exec_lo, exec_lo, s1
	s_and_saveexec_b32 s1, vcc_lo
	s_cbranch_execz .LBB0_36
; %bb.34:
	s_clause 0x1
	global_load_b128 v[53:56], v[50:51], off offset:1296
	global_load_b128 v[64:67], v[50:51], off offset:1280
	v_dual_mov_b32 v43, 0 :: v_dual_lshlrev_b32 v42, 1, v75
	v_add_nc_u32_e32 v94, 27, v72
	s_mov_b32 s7, 0x3febb67a
	s_delay_alu instid0(VALU_DEP_2) | instskip(SKIP_1) | instid1(VALU_DEP_3)
	v_lshlrev_b64_e32 v[57:58], 4, v[42:43]
	v_lshlrev_b32_e32 v42, 1, v74
	v_lshrrev_b32_e32 v59, 1, v94
	s_delay_alu instid0(VALU_DEP_2) | instskip(NEXT) | instid1(VALU_DEP_4)
	v_lshlrev_b64_e32 v[50:51], 4, v[42:43]
	v_add_co_u32 v57, vcc_lo, s4, v57
	s_wait_alu 0xfffd
	v_add_co_ci_u32_e32 v58, vcc_lo, s5, v58, vcc_lo
	v_mul_lo_u32 v42, s3, v62
	s_delay_alu instid0(VALU_DEP_4)
	v_add_co_u32 v50, vcc_lo, s4, v50
	s_wait_alu 0xfffd
	v_add_co_ci_u32_e32 v51, vcc_lo, s5, v51, vcc_lo
	s_clause 0x3
	global_load_b128 v[68:71], v[57:58], off offset:1280
	global_load_b128 v[74:77], v[57:58], off offset:1296
	;; [unrolled: 1-line block ×4, first 2 shown]
	v_mul_lo_u32 v57, s2, v63
	v_mad_co_u64_u32 v[51:52], null, s2, v62, 0
	v_lshrrev_b32_e32 v58, 1, v72
	s_mov_b32 s2, 0xe8584caa
	s_mov_b32 s3, 0xbfebb67a
	s_wait_alu 0xfffe
	s_mov_b32 s6, s2
	v_mul_hi_u32 v96, 0xb60b60b7, v58
	s_delay_alu instid0(VALU_DEP_3) | instskip(SKIP_2) | instid1(VALU_DEP_3)
	v_add3_u32 v52, v52, v57, v42
	v_mul_hi_u32 v42, 0xb60b60b7, v59
	v_lshlrev_b64_e32 v[59:60], 4, v[60:61]
	v_lshlrev_b64_e32 v[51:52], 4, v[51:52]
	v_lshrrev_b32_e32 v96, 5, v96
	s_delay_alu instid0(VALU_DEP_1) | instskip(SKIP_1) | instid1(VALU_DEP_4)
	v_mul_lo_u32 v61, 0x5a, v96
	v_lshrrev_b32_e32 v96, 5, v42
	v_add_co_u32 v42, s1, s10, v51
	s_wait_alu 0xf1ff
	v_add_co_ci_u32_e64 v52, s1, s11, v52, s1
	s_delay_alu instid0(VALU_DEP_3) | instskip(NEXT) | instid1(VALU_DEP_3)
	v_mul_lo_u32 v98, 0x5a, v96
	v_add_co_u32 v51, s1, v42, v59
	v_sub_nc_u32_e32 v100, v72, v61
	s_wait_alu 0xf1ff
	v_add_co_ci_u32_e64 v52, s1, v52, v60, s1
	s_delay_alu instid0(VALU_DEP_2)
	v_mad_co_u64_u32 v[59:60], null, s16, v100, 0
	v_sub_nc_u32_e32 v42, v94, v98
	v_add_nc_u32_e32 v102, 0xb4, v100
	s_wait_loadcnt 0x5
	v_mul_f64_e32 v[62:63], v[10:11], v[55:56]
	s_wait_loadcnt 0x4
	v_mul_f64_e32 v[57:58], v[16:17], v[66:67]
	s_wait_dscnt 0x5
	v_mul_f64_e32 v[66:67], v[20:21], v[66:67]
	s_wait_dscnt 0x4
	v_mul_f64_e32 v[55:56], v[30:31], v[55:56]
	s_wait_loadcnt 0x3
	v_mul_f64_e32 v[86:87], v[8:9], v[70:71]
	s_wait_loadcnt 0x2
	;; [unrolled: 2-line block ×4, first 2 shown]
	v_mul_f64_e32 v[92:93], v[12:13], v[84:85]
	v_mul_f64_e32 v[80:81], v[22:23], v[80:81]
	s_wait_dscnt 0x3
	v_mul_f64_e32 v[84:85], v[24:25], v[84:85]
	v_mul_f64_e32 v[70:71], v[28:29], v[70:71]
	;; [unrolled: 1-line block ×3, first 2 shown]
	v_fma_f64 v[30:31], v[30:31], v[53:54], -v[62:63]
	v_fma_f64 v[20:21], v[20:21], v[64:65], -v[57:58]
	v_mov_b32_e32 v57, v60
	v_fma_f64 v[16:17], v[16:17], v[64:65], v[66:67]
	v_fma_f64 v[53:54], v[10:11], v[53:54], v[55:56]
	v_mad_co_u64_u32 v[62:63], null, 0x10e, v96, v[42:43]
	s_delay_alu instid0(VALU_DEP_4) | instskip(NEXT) | instid1(VALU_DEP_1)
	v_mad_co_u64_u32 v[57:58], null, s17, v100, v[57:58]
	v_dual_mov_b32 v60, v57 :: v_dual_add_nc_u32 v95, 54, v72
	s_delay_alu instid0(VALU_DEP_1) | instskip(NEXT) | instid1(VALU_DEP_2)
	v_lshrrev_b32_e32 v97, 1, v95
	v_lshlrev_b64_e32 v[59:60], 4, v[59:60]
	s_delay_alu instid0(VALU_DEP_2)
	v_mul_hi_u32 v97, 0xb60b60b7, v97
	v_fma_f64 v[10:11], v[28:29], v[68:69], -v[86:87]
	v_fma_f64 v[26:27], v[26:27], v[74:75], -v[88:89]
	;; [unrolled: 1-line block ×4, first 2 shown]
	v_fma_f64 v[18:19], v[18:19], v[78:79], v[80:81]
	v_fma_f64 v[28:29], v[12:13], v[82:83], v[84:85]
	;; [unrolled: 1-line block ×3, first 2 shown]
	v_lshrrev_b32_e32 v97, 5, v97
	v_fma_f64 v[55:56], v[14:15], v[74:75], v[76:77]
	v_mad_co_u64_u32 v[14:15], null, s16, v102, 0
	v_add_co_u32 v59, s1, v51, v59
	s_delay_alu instid0(VALU_DEP_4) | instskip(SKIP_4) | instid1(VALU_DEP_4)
	v_mul_lo_u32 v99, 0x5a, v97
	s_wait_alu 0xf1ff
	v_add_co_ci_u32_e64 v60, s1, v52, v60, s1
	v_add_f64_e32 v[76:77], v[20:21], v[30:31]
	v_add_f64_e32 v[80:81], v[16:17], v[53:54]
	v_sub_nc_u32_e32 v61, v95, v99
	s_wait_dscnt 0x2
	v_add_f64_e32 v[94:95], v[48:49], v[20:21]
	s_delay_alu instid0(VALU_DEP_2) | instskip(SKIP_3) | instid1(VALU_DEP_4)
	v_mad_co_u64_u32 v[63:64], null, 0x10e, v97, v[61:62]
	v_mad_co_u64_u32 v[64:65], null, s16, v62, 0
	v_add_nc_u32_e32 v101, 0x5a, v100
	v_add_f64_e64 v[96:97], v[20:21], -v[30:31]
	v_mad_co_u64_u32 v[66:67], null, s16, v63, 0
	s_delay_alu instid0(VALU_DEP_4) | instskip(NEXT) | instid1(VALU_DEP_4)
	v_mov_b32_e32 v42, v65
	v_mad_co_u64_u32 v[12:13], null, s16, v101, 0
	v_add_nc_u32_e32 v107, 0xb4, v63
	v_add_f64_e32 v[57:58], v[10:11], v[26:27]
	v_add_f64_e32 v[82:83], v[22:23], v[24:25]
	v_mov_b32_e32 v61, v67
	v_add_f64_e32 v[84:85], v[18:19], v[28:29]
	v_mad_co_u64_u32 v[86:87], null, s16, v107, 0
	v_mad_co_u64_u32 v[68:69], null, s17, v101, v[13:14]
	v_add_nc_u32_e32 v92, 0xb4, v62
	v_add_nc_u32_e32 v50, 0x51, v72
	v_add_f64_e32 v[88:89], v[8:9], v[55:56]
	v_mad_co_u64_u32 v[69:70], null, s17, v102, v[15:16]
	s_delay_alu instid0(VALU_DEP_4) | instskip(SKIP_2) | instid1(VALU_DEP_4)
	v_mad_co_u64_u32 v[74:75], null, s16, v92, 0
	v_mov_b32_e32 v13, v68
	v_mad_co_u64_u32 v[67:68], null, s17, v62, v[42:43]
	v_dual_mov_b32 v15, v69 :: v_dual_add_nc_u32 v106, 0x5a, v63
	s_wait_dscnt 0x0
	v_add_f64_e32 v[20:21], v[46:47], v[10:11]
	v_add_f64_e32 v[102:103], v[44:45], v[22:23]
	v_fma_f64 v[48:49], v[76:77], -0.5, v[48:49]
	v_add_f64_e32 v[104:105], v[38:39], v[18:19]
	v_mov_b32_e32 v65, v67
	v_mad_co_u64_u32 v[78:79], null, s16, v106, 0
	v_add_nc_u32_e32 v90, 0x5a, v62
	v_mov_b32_e32 v62, v75
	v_add_f64_e64 v[76:77], v[18:19], -v[28:29]
	v_add_f64_e32 v[100:101], v[36:37], v[8:9]
	v_add_f64_e64 v[98:99], v[8:9], -v[55:56]
	v_lshlrev_b64_e32 v[12:13], 4, v[12:13]
	v_mad_co_u64_u32 v[68:69], null, s17, v63, v[61:62]
	v_mov_b32_e32 v61, v79
	v_mad_co_u64_u32 v[70:71], null, s16, v90, 0
	v_mov_b32_e32 v63, v87
	v_fma_f64 v[44:45], v[82:83], -0.5, v[44:45]
	v_fma_f64 v[57:58], v[57:58], -0.5, v[46:47]
	v_mov_b32_e32 v67, v68
	v_fma_f64 v[82:83], v[84:85], -0.5, v[38:39]
	v_mad_co_u64_u32 v[8:9], null, s17, v106, v[61:62]
	v_mov_b32_e32 v42, v71
	v_lshlrev_b64_e32 v[14:15], 4, v[14:15]
	v_add_co_u32 v68, s1, v51, v12
	v_fma_f64 v[84:85], v[88:89], -0.5, v[36:37]
	s_delay_alu instid0(VALU_DEP_4)
	v_mad_co_u64_u32 v[90:91], null, s17, v90, v[42:43]
	v_mad_co_u64_u32 v[91:92], null, s17, v92, v[62:63]
	v_add_f64_e64 v[92:93], v[16:17], -v[53:54]
	v_add_f64_e32 v[16:17], v[40:41], v[16:17]
	v_fma_f64 v[40:41], v[80:81], -0.5, v[40:41]
	v_add_f64_e64 v[80:81], v[22:23], -v[24:25]
	v_add_f64_e64 v[61:62], v[10:11], -v[26:27]
	v_mad_co_u64_u32 v[9:10], null, s17, v107, v[63:64]
	s_wait_alu 0xf1ff
	v_add_co_ci_u32_e64 v69, s1, v52, v13, s1
	v_add_co_u32 v88, s1, v51, v14
	v_mov_b32_e32 v79, v8
	v_add_f64_e32 v[10:11], v[94:95], v[30:31]
	v_mov_b32_e32 v87, v9
	s_wait_alu 0xf1ff
	v_add_co_ci_u32_e64 v89, s1, v52, v15, s1
	v_add_f64_e32 v[14:15], v[20:21], v[26:27]
	v_add_f64_e32 v[18:19], v[102:103], v[24:25]
	;; [unrolled: 1-line block ×3, first 2 shown]
	v_lshlrev_b64_e32 v[63:64], 4, v[64:65]
	v_mov_b32_e32 v71, v90
	v_mov_b32_e32 v75, v91
	v_cmp_gt_u32_e32 vcc_lo, 0x5a, v50
	v_fma_f64 v[38:39], v[76:77], s[2:3], v[44:45]
	s_wait_alu 0xfffe
	v_fma_f64 v[46:47], v[76:77], s[6:7], v[44:45]
	v_fma_f64 v[55:56], v[98:99], s[6:7], v[57:58]
	;; [unrolled: 1-line block ×3, first 2 shown]
	v_add_co_u32 v63, s1, v51, v63
	s_wait_alu 0xf1ff
	v_add_co_ci_u32_e64 v64, s1, v52, v64, s1
	v_lshlrev_b64_e32 v[57:58], 4, v[74:75]
	v_fma_f64 v[26:27], v[92:93], s[6:7], v[48:49]
	v_add_f64_e32 v[8:9], v[16:17], v[53:54]
	v_fma_f64 v[24:25], v[96:97], s[2:3], v[40:41]
	v_fma_f64 v[22:23], v[92:93], s[2:3], v[48:49]
	;; [unrolled: 1-line block ×3, first 2 shown]
	v_add_f64_e32 v[16:17], v[104:105], v[28:29]
	v_fma_f64 v[44:45], v[80:81], s[2:3], v[82:83]
	v_fma_f64 v[36:37], v[80:81], s[6:7], v[82:83]
	;; [unrolled: 1-line block ×4, first 2 shown]
	v_lshlrev_b64_e32 v[40:41], 4, v[66:67]
	v_lshlrev_b64_e32 v[48:49], 4, v[70:71]
	v_lshlrev_b64_e32 v[61:62], 4, v[78:79]
	v_lshlrev_b64_e32 v[65:66], 4, v[86:87]
	s_delay_alu instid0(VALU_DEP_4)
	v_add_co_u32 v40, s1, v51, v40
	s_wait_alu 0xf1ff
	v_add_co_ci_u32_e64 v41, s1, v52, v41, s1
	v_add_co_u32 v48, s1, v51, v48
	s_wait_alu 0xf1ff
	v_add_co_ci_u32_e64 v49, s1, v52, v49, s1
	;; [unrolled: 3-line block ×5, first 2 shown]
	s_clause 0x8
	global_store_b128 v[59:60], v[8:11], off
	global_store_b128 v[68:69], v[24:27], off
	;; [unrolled: 1-line block ×9, first 2 shown]
	s_and_b32 exec_lo, exec_lo, vcc_lo
	s_cbranch_execz .LBB0_36
; %bb.35:
	v_add_nc_u32_e32 v24, 0xab, v72
	s_delay_alu instid0(VALU_DEP_1) | instskip(SKIP_1) | instid1(VALU_DEP_1)
	v_mad_co_u64_u32 v[20:21], null, s16, v24, 0
	v_add_nc_u32_e32 v25, 0x105, v72
	v_mad_co_u64_u32 v[22:23], null, s16, v25, 0
	v_add_nc_u32_e32 v8, -9, v72
	s_delay_alu instid0(VALU_DEP_1) | instskip(NEXT) | instid1(VALU_DEP_1)
	v_cndmask_b32_e64 v8, v8, v73, s0
	v_lshlrev_b32_e32 v42, 1, v8
	s_delay_alu instid0(VALU_DEP_1) | instskip(NEXT) | instid1(VALU_DEP_1)
	v_lshlrev_b64_e32 v[8:9], 4, v[42:43]
	v_add_co_u32 v12, vcc_lo, s4, v8
	s_wait_alu 0xfffd
	s_delay_alu instid0(VALU_DEP_2)
	v_add_co_ci_u32_e32 v13, vcc_lo, s5, v9, vcc_lo
	s_clause 0x1
	global_load_b128 v[8:11], v[12:13], off offset:1280
	global_load_b128 v[12:15], v[12:13], off offset:1296
	s_wait_loadcnt 0x1
	v_mul_f64_e32 v[16:17], v[4:5], v[10:11]
	s_wait_loadcnt 0x0
	v_mul_f64_e32 v[18:19], v[6:7], v[14:15]
	v_mul_f64_e32 v[10:11], v[0:1], v[10:11]
	;; [unrolled: 1-line block ×3, first 2 shown]
	s_delay_alu instid0(VALU_DEP_4) | instskip(NEXT) | instid1(VALU_DEP_4)
	v_fma_f64 v[0:1], v[0:1], v[8:9], v[16:17]
	v_fma_f64 v[2:3], v[2:3], v[12:13], v[18:19]
	s_delay_alu instid0(VALU_DEP_4) | instskip(NEXT) | instid1(VALU_DEP_4)
	v_fma_f64 v[4:5], v[4:5], v[8:9], -v[10:11]
	v_fma_f64 v[6:7], v[6:7], v[12:13], -v[14:15]
	v_mad_co_u64_u32 v[18:19], null, s16, v50, 0
	v_add_f64_e32 v[12:13], v[32:33], v[0:1]
	v_add_f64_e32 v[8:9], v[0:1], v[2:3]
	v_add_f64_e64 v[16:17], v[0:1], -v[2:3]
	v_add_f64_e32 v[10:11], v[4:5], v[6:7]
	v_add_f64_e64 v[14:15], v[4:5], -v[6:7]
	v_add_f64_e32 v[4:5], v[34:35], v[4:5]
	v_add_f64_e32 v[0:1], v[12:13], v[2:3]
	v_fma_f64 v[8:9], v[8:9], -0.5, v[32:33]
	v_mov_b32_e32 v12, v21
	v_fma_f64 v[10:11], v[10:11], -0.5, v[34:35]
	v_mov_b32_e32 v13, v23
	v_add_f64_e32 v[2:3], v[4:5], v[6:7]
	v_fma_f64 v[4:5], v[14:15], s[2:3], v[8:9]
	v_fma_f64 v[8:9], v[14:15], s[6:7], v[8:9]
	;; [unrolled: 1-line block ×4, first 2 shown]
	v_mad_co_u64_u32 v[14:15], null, s17, v50, v[19:20]
	v_mad_co_u64_u32 v[15:16], null, s17, v24, v[12:13]
	s_delay_alu instid0(VALU_DEP_2) | instskip(SKIP_1) | instid1(VALU_DEP_3)
	v_mov_b32_e32 v19, v14
	v_mad_co_u64_u32 v[12:13], null, s17, v25, v[13:14]
	v_mov_b32_e32 v21, v15
	s_delay_alu instid0(VALU_DEP_1) | instskip(NEXT) | instid1(VALU_DEP_3)
	v_lshlrev_b64_e32 v[14:15], 4, v[20:21]
	v_mov_b32_e32 v23, v12
	v_lshlrev_b64_e32 v[12:13], 4, v[18:19]
	s_delay_alu instid0(VALU_DEP_2) | instskip(NEXT) | instid1(VALU_DEP_2)
	v_lshlrev_b64_e32 v[16:17], 4, v[22:23]
	v_add_co_u32 v12, vcc_lo, v51, v12
	s_wait_alu 0xfffd
	s_delay_alu instid0(VALU_DEP_3)
	v_add_co_ci_u32_e32 v13, vcc_lo, v52, v13, vcc_lo
	v_add_co_u32 v14, vcc_lo, v51, v14
	s_wait_alu 0xfffd
	v_add_co_ci_u32_e32 v15, vcc_lo, v52, v15, vcc_lo
	v_add_co_u32 v16, vcc_lo, v51, v16
	s_wait_alu 0xfffd
	v_add_co_ci_u32_e32 v17, vcc_lo, v52, v17, vcc_lo
	s_clause 0x2
	global_store_b128 v[12:13], v[0:3], off
	global_store_b128 v[14:15], v[4:7], off
	;; [unrolled: 1-line block ×3, first 2 shown]
.LBB0_36:
	s_nop 0
	s_sendmsg sendmsg(MSG_DEALLOC_VGPRS)
	s_endpgm
	.section	.rodata,"a",@progbits
	.p2align	6, 0x0
	.amdhsa_kernel fft_rtc_back_len270_factors_10_3_3_3_wgs_108_tpt_27_halfLds_dp_op_CI_CI_sbrr_dirReg
		.amdhsa_group_segment_fixed_size 0
		.amdhsa_private_segment_fixed_size 0
		.amdhsa_kernarg_size 104
		.amdhsa_user_sgpr_count 2
		.amdhsa_user_sgpr_dispatch_ptr 0
		.amdhsa_user_sgpr_queue_ptr 0
		.amdhsa_user_sgpr_kernarg_segment_ptr 1
		.amdhsa_user_sgpr_dispatch_id 0
		.amdhsa_user_sgpr_private_segment_size 0
		.amdhsa_wavefront_size32 1
		.amdhsa_uses_dynamic_stack 0
		.amdhsa_enable_private_segment 0
		.amdhsa_system_sgpr_workgroup_id_x 1
		.amdhsa_system_sgpr_workgroup_id_y 0
		.amdhsa_system_sgpr_workgroup_id_z 0
		.amdhsa_system_sgpr_workgroup_info 0
		.amdhsa_system_vgpr_workitem_id 0
		.amdhsa_next_free_vgpr 123
		.amdhsa_next_free_sgpr 43
		.amdhsa_reserve_vcc 1
		.amdhsa_float_round_mode_32 0
		.amdhsa_float_round_mode_16_64 0
		.amdhsa_float_denorm_mode_32 3
		.amdhsa_float_denorm_mode_16_64 3
		.amdhsa_fp16_overflow 0
		.amdhsa_workgroup_processor_mode 1
		.amdhsa_memory_ordered 1
		.amdhsa_forward_progress 0
		.amdhsa_round_robin_scheduling 0
		.amdhsa_exception_fp_ieee_invalid_op 0
		.amdhsa_exception_fp_denorm_src 0
		.amdhsa_exception_fp_ieee_div_zero 0
		.amdhsa_exception_fp_ieee_overflow 0
		.amdhsa_exception_fp_ieee_underflow 0
		.amdhsa_exception_fp_ieee_inexact 0
		.amdhsa_exception_int_div_zero 0
	.end_amdhsa_kernel
	.text
.Lfunc_end0:
	.size	fft_rtc_back_len270_factors_10_3_3_3_wgs_108_tpt_27_halfLds_dp_op_CI_CI_sbrr_dirReg, .Lfunc_end0-fft_rtc_back_len270_factors_10_3_3_3_wgs_108_tpt_27_halfLds_dp_op_CI_CI_sbrr_dirReg
                                        ; -- End function
	.section	.AMDGPU.csdata,"",@progbits
; Kernel info:
; codeLenInByte = 8820
; NumSgprs: 45
; NumVgprs: 123
; ScratchSize: 0
; MemoryBound: 1
; FloatMode: 240
; IeeeMode: 1
; LDSByteSize: 0 bytes/workgroup (compile time only)
; SGPRBlocks: 5
; VGPRBlocks: 15
; NumSGPRsForWavesPerEU: 45
; NumVGPRsForWavesPerEU: 123
; Occupancy: 10
; WaveLimiterHint : 1
; COMPUTE_PGM_RSRC2:SCRATCH_EN: 0
; COMPUTE_PGM_RSRC2:USER_SGPR: 2
; COMPUTE_PGM_RSRC2:TRAP_HANDLER: 0
; COMPUTE_PGM_RSRC2:TGID_X_EN: 1
; COMPUTE_PGM_RSRC2:TGID_Y_EN: 0
; COMPUTE_PGM_RSRC2:TGID_Z_EN: 0
; COMPUTE_PGM_RSRC2:TIDIG_COMP_CNT: 0
	.text
	.p2alignl 7, 3214868480
	.fill 96, 4, 3214868480
	.type	__hip_cuid_805db4158553bdb1,@object ; @__hip_cuid_805db4158553bdb1
	.section	.bss,"aw",@nobits
	.globl	__hip_cuid_805db4158553bdb1
__hip_cuid_805db4158553bdb1:
	.byte	0                               ; 0x0
	.size	__hip_cuid_805db4158553bdb1, 1

	.ident	"AMD clang version 19.0.0git (https://github.com/RadeonOpenCompute/llvm-project roc-6.4.0 25133 c7fe45cf4b819c5991fe208aaa96edf142730f1d)"
	.section	".note.GNU-stack","",@progbits
	.addrsig
	.addrsig_sym __hip_cuid_805db4158553bdb1
	.amdgpu_metadata
---
amdhsa.kernels:
  - .args:
      - .actual_access:  read_only
        .address_space:  global
        .offset:         0
        .size:           8
        .value_kind:     global_buffer
      - .offset:         8
        .size:           8
        .value_kind:     by_value
      - .actual_access:  read_only
        .address_space:  global
        .offset:         16
        .size:           8
        .value_kind:     global_buffer
      - .actual_access:  read_only
        .address_space:  global
        .offset:         24
        .size:           8
        .value_kind:     global_buffer
      - .actual_access:  read_only
        .address_space:  global
        .offset:         32
        .size:           8
        .value_kind:     global_buffer
      - .offset:         40
        .size:           8
        .value_kind:     by_value
      - .actual_access:  read_only
        .address_space:  global
        .offset:         48
        .size:           8
        .value_kind:     global_buffer
      - .actual_access:  read_only
        .address_space:  global
        .offset:         56
        .size:           8
        .value_kind:     global_buffer
      - .offset:         64
        .size:           4
        .value_kind:     by_value
      - .actual_access:  read_only
        .address_space:  global
        .offset:         72
        .size:           8
        .value_kind:     global_buffer
      - .actual_access:  read_only
        .address_space:  global
        .offset:         80
        .size:           8
        .value_kind:     global_buffer
      - .actual_access:  read_only
        .address_space:  global
        .offset:         88
        .size:           8
        .value_kind:     global_buffer
      - .actual_access:  write_only
        .address_space:  global
        .offset:         96
        .size:           8
        .value_kind:     global_buffer
    .group_segment_fixed_size: 0
    .kernarg_segment_align: 8
    .kernarg_segment_size: 104
    .language:       OpenCL C
    .language_version:
      - 2
      - 0
    .max_flat_workgroup_size: 108
    .name:           fft_rtc_back_len270_factors_10_3_3_3_wgs_108_tpt_27_halfLds_dp_op_CI_CI_sbrr_dirReg
    .private_segment_fixed_size: 0
    .sgpr_count:     45
    .sgpr_spill_count: 0
    .symbol:         fft_rtc_back_len270_factors_10_3_3_3_wgs_108_tpt_27_halfLds_dp_op_CI_CI_sbrr_dirReg.kd
    .uniform_work_group_size: 1
    .uses_dynamic_stack: false
    .vgpr_count:     123
    .vgpr_spill_count: 0
    .wavefront_size: 32
    .workgroup_processor_mode: 1
amdhsa.target:   amdgcn-amd-amdhsa--gfx1201
amdhsa.version:
  - 1
  - 2
...

	.end_amdgpu_metadata
